;; amdgpu-corpus repo=ROCm/rocFFT kind=compiled arch=gfx1030 opt=O3
	.text
	.amdgcn_target "amdgcn-amd-amdhsa--gfx1030"
	.amdhsa_code_object_version 6
	.protected	fft_rtc_back_len200_factors_10_10_2_wgs_60_tpt_20_halfLds_dp_ip_CI_unitstride_sbrr_C2R_dirReg ; -- Begin function fft_rtc_back_len200_factors_10_10_2_wgs_60_tpt_20_halfLds_dp_ip_CI_unitstride_sbrr_C2R_dirReg
	.globl	fft_rtc_back_len200_factors_10_10_2_wgs_60_tpt_20_halfLds_dp_ip_CI_unitstride_sbrr_C2R_dirReg
	.p2align	8
	.type	fft_rtc_back_len200_factors_10_10_2_wgs_60_tpt_20_halfLds_dp_ip_CI_unitstride_sbrr_C2R_dirReg,@function
fft_rtc_back_len200_factors_10_10_2_wgs_60_tpt_20_halfLds_dp_ip_CI_unitstride_sbrr_C2R_dirReg: ; @fft_rtc_back_len200_factors_10_10_2_wgs_60_tpt_20_halfLds_dp_ip_CI_unitstride_sbrr_C2R_dirReg
; %bb.0:
	s_load_dwordx4 s[8:11], s[4:5], 0x0
	v_mul_u32_u24_e32 v1, 0xccd, v0
	s_clause 0x1
	s_load_dwordx2 s[2:3], s[4:5], 0x50
	s_load_dwordx2 s[12:13], s[4:5], 0x18
	v_mov_b32_e32 v5, 0
	v_mov_b32_e32 v3, 0
	;; [unrolled: 1-line block ×3, first 2 shown]
	v_lshrrev_b32_e32 v1, 16, v1
	v_mad_u64_u32 v[1:2], null, s6, 3, v[1:2]
	v_mov_b32_e32 v2, v5
	v_mov_b32_e32 v10, v2
	;; [unrolled: 1-line block ×3, first 2 shown]
	s_waitcnt lgkmcnt(0)
	v_cmp_lt_u64_e64 s0, s[10:11], 2
	s_and_b32 vcc_lo, exec_lo, s0
	s_cbranch_vccnz .LBB0_8
; %bb.1:
	s_load_dwordx2 s[0:1], s[4:5], 0x10
	v_mov_b32_e32 v3, 0
	v_mov_b32_e32 v8, v2
	s_add_u32 s6, s12, 8
	v_mov_b32_e32 v4, 0
	v_mov_b32_e32 v7, v1
	s_addc_u32 s7, s13, 0
	s_mov_b64 s[16:17], 1
	s_waitcnt lgkmcnt(0)
	s_add_u32 s14, s0, 8
	s_addc_u32 s15, s1, 0
.LBB0_2:                                ; =>This Inner Loop Header: Depth=1
	s_load_dwordx2 s[18:19], s[14:15], 0x0
                                        ; implicit-def: $vgpr9_vgpr10
	s_mov_b32 s0, exec_lo
	s_waitcnt lgkmcnt(0)
	v_or_b32_e32 v6, s19, v8
	v_cmpx_ne_u64_e32 0, v[5:6]
	s_xor_b32 s1, exec_lo, s0
	s_cbranch_execz .LBB0_4
; %bb.3:                                ;   in Loop: Header=BB0_2 Depth=1
	v_cvt_f32_u32_e32 v2, s18
	v_cvt_f32_u32_e32 v6, s19
	s_sub_u32 s0, 0, s18
	s_subb_u32 s20, 0, s19
	v_fmac_f32_e32 v2, 0x4f800000, v6
	v_rcp_f32_e32 v2, v2
	v_mul_f32_e32 v2, 0x5f7ffffc, v2
	v_mul_f32_e32 v6, 0x2f800000, v2
	v_trunc_f32_e32 v6, v6
	v_fmac_f32_e32 v2, 0xcf800000, v6
	v_cvt_u32_f32_e32 v6, v6
	v_cvt_u32_f32_e32 v2, v2
	v_mul_lo_u32 v9, s0, v6
	v_mul_hi_u32 v10, s0, v2
	v_mul_lo_u32 v11, s20, v2
	v_add_nc_u32_e32 v9, v10, v9
	v_mul_lo_u32 v10, s0, v2
	v_add_nc_u32_e32 v9, v9, v11
	v_mul_hi_u32 v11, v2, v10
	v_mul_lo_u32 v12, v2, v9
	v_mul_hi_u32 v13, v2, v9
	v_mul_hi_u32 v14, v6, v10
	v_mul_lo_u32 v10, v6, v10
	v_mul_hi_u32 v15, v6, v9
	v_mul_lo_u32 v9, v6, v9
	v_add_co_u32 v11, vcc_lo, v11, v12
	v_add_co_ci_u32_e32 v12, vcc_lo, 0, v13, vcc_lo
	v_add_co_u32 v10, vcc_lo, v11, v10
	v_add_co_ci_u32_e32 v10, vcc_lo, v12, v14, vcc_lo
	v_add_co_ci_u32_e32 v11, vcc_lo, 0, v15, vcc_lo
	v_add_co_u32 v9, vcc_lo, v10, v9
	v_add_co_ci_u32_e32 v10, vcc_lo, 0, v11, vcc_lo
	v_add_co_u32 v2, vcc_lo, v2, v9
	v_add_co_ci_u32_e32 v6, vcc_lo, v6, v10, vcc_lo
	v_mul_hi_u32 v9, s0, v2
	v_mul_lo_u32 v11, s20, v2
	v_mul_lo_u32 v10, s0, v6
	v_add_nc_u32_e32 v9, v9, v10
	v_mul_lo_u32 v10, s0, v2
	v_add_nc_u32_e32 v9, v9, v11
	v_mul_hi_u32 v11, v2, v10
	v_mul_lo_u32 v12, v2, v9
	v_mul_hi_u32 v13, v2, v9
	v_mul_hi_u32 v14, v6, v10
	v_mul_lo_u32 v10, v6, v10
	v_mul_hi_u32 v15, v6, v9
	v_mul_lo_u32 v9, v6, v9
	v_add_co_u32 v11, vcc_lo, v11, v12
	v_add_co_ci_u32_e32 v12, vcc_lo, 0, v13, vcc_lo
	v_add_co_u32 v10, vcc_lo, v11, v10
	v_add_co_ci_u32_e32 v10, vcc_lo, v12, v14, vcc_lo
	v_add_co_ci_u32_e32 v11, vcc_lo, 0, v15, vcc_lo
	v_add_co_u32 v9, vcc_lo, v10, v9
	v_add_co_ci_u32_e32 v10, vcc_lo, 0, v11, vcc_lo
	v_add_co_u32 v2, vcc_lo, v2, v9
	v_add_co_ci_u32_e32 v6, vcc_lo, v6, v10, vcc_lo
	v_mul_hi_u32 v15, v7, v2
	v_mad_u64_u32 v[11:12], null, v8, v2, 0
	v_mad_u64_u32 v[9:10], null, v7, v6, 0
	v_mad_u64_u32 v[13:14], null, v8, v6, 0
	v_add_co_u32 v2, vcc_lo, v15, v9
	v_add_co_ci_u32_e32 v6, vcc_lo, 0, v10, vcc_lo
	v_add_co_u32 v2, vcc_lo, v2, v11
	v_add_co_ci_u32_e32 v2, vcc_lo, v6, v12, vcc_lo
	v_add_co_ci_u32_e32 v6, vcc_lo, 0, v14, vcc_lo
	v_add_co_u32 v2, vcc_lo, v2, v13
	v_add_co_ci_u32_e32 v6, vcc_lo, 0, v6, vcc_lo
	v_mul_lo_u32 v11, s19, v2
	v_mad_u64_u32 v[9:10], null, s18, v2, 0
	v_mul_lo_u32 v12, s18, v6
	v_sub_co_u32 v9, vcc_lo, v7, v9
	v_add3_u32 v10, v10, v12, v11
	v_sub_nc_u32_e32 v11, v8, v10
	v_subrev_co_ci_u32_e64 v11, s0, s19, v11, vcc_lo
	v_add_co_u32 v12, s0, v2, 2
	v_add_co_ci_u32_e64 v13, s0, 0, v6, s0
	v_sub_co_u32 v14, s0, v9, s18
	v_sub_co_ci_u32_e32 v10, vcc_lo, v8, v10, vcc_lo
	v_subrev_co_ci_u32_e64 v11, s0, 0, v11, s0
	v_cmp_le_u32_e32 vcc_lo, s18, v14
	v_cmp_eq_u32_e64 s0, s19, v10
	v_cndmask_b32_e64 v14, 0, -1, vcc_lo
	v_cmp_le_u32_e32 vcc_lo, s19, v11
	v_cndmask_b32_e64 v15, 0, -1, vcc_lo
	v_cmp_le_u32_e32 vcc_lo, s18, v9
	;; [unrolled: 2-line block ×3, first 2 shown]
	v_cndmask_b32_e64 v16, 0, -1, vcc_lo
	v_cmp_eq_u32_e32 vcc_lo, s19, v11
	v_cndmask_b32_e64 v9, v16, v9, s0
	v_cndmask_b32_e32 v11, v15, v14, vcc_lo
	v_add_co_u32 v14, vcc_lo, v2, 1
	v_add_co_ci_u32_e32 v15, vcc_lo, 0, v6, vcc_lo
	v_cmp_ne_u32_e32 vcc_lo, 0, v11
	v_cndmask_b32_e32 v10, v15, v13, vcc_lo
	v_cndmask_b32_e32 v11, v14, v12, vcc_lo
	v_cmp_ne_u32_e32 vcc_lo, 0, v9
	v_cndmask_b32_e32 v10, v6, v10, vcc_lo
	v_cndmask_b32_e32 v9, v2, v11, vcc_lo
.LBB0_4:                                ;   in Loop: Header=BB0_2 Depth=1
	s_andn2_saveexec_b32 s0, s1
	s_cbranch_execz .LBB0_6
; %bb.5:                                ;   in Loop: Header=BB0_2 Depth=1
	v_cvt_f32_u32_e32 v2, s18
	s_sub_i32 s1, 0, s18
	v_rcp_iflag_f32_e32 v2, v2
	v_mul_f32_e32 v2, 0x4f7ffffe, v2
	v_cvt_u32_f32_e32 v2, v2
	v_mul_lo_u32 v6, s1, v2
	v_mul_hi_u32 v6, v2, v6
	v_add_nc_u32_e32 v2, v2, v6
	v_mul_hi_u32 v2, v7, v2
	v_mul_lo_u32 v6, v2, s18
	v_add_nc_u32_e32 v9, 1, v2
	v_sub_nc_u32_e32 v6, v7, v6
	v_subrev_nc_u32_e32 v10, s18, v6
	v_cmp_le_u32_e32 vcc_lo, s18, v6
	v_cndmask_b32_e32 v6, v6, v10, vcc_lo
	v_cndmask_b32_e32 v2, v2, v9, vcc_lo
	v_mov_b32_e32 v10, v5
	v_cmp_le_u32_e32 vcc_lo, s18, v6
	v_add_nc_u32_e32 v9, 1, v2
	v_cndmask_b32_e32 v9, v2, v9, vcc_lo
.LBB0_6:                                ;   in Loop: Header=BB0_2 Depth=1
	s_or_b32 exec_lo, exec_lo, s0
	s_load_dwordx2 s[0:1], s[6:7], 0x0
	v_mul_lo_u32 v2, v10, s18
	v_mul_lo_u32 v6, v9, s19
	v_mad_u64_u32 v[11:12], null, v9, s18, 0
	s_add_u32 s16, s16, 1
	s_addc_u32 s17, s17, 0
	s_add_u32 s6, s6, 8
	s_addc_u32 s7, s7, 0
	;; [unrolled: 2-line block ×3, first 2 shown]
	v_add3_u32 v2, v12, v6, v2
	v_sub_co_u32 v6, vcc_lo, v7, v11
	v_sub_co_ci_u32_e32 v2, vcc_lo, v8, v2, vcc_lo
	s_waitcnt lgkmcnt(0)
	v_mul_lo_u32 v7, s1, v6
	v_mul_lo_u32 v2, s0, v2
	v_mad_u64_u32 v[3:4], null, s0, v6, v[3:4]
	v_cmp_ge_u64_e64 s0, s[16:17], s[10:11]
	s_and_b32 vcc_lo, exec_lo, s0
	v_add3_u32 v4, v7, v4, v2
	s_cbranch_vccnz .LBB0_8
; %bb.7:                                ;   in Loop: Header=BB0_2 Depth=1
	v_mov_b32_e32 v7, v9
	v_mov_b32_e32 v8, v10
	s_branch .LBB0_2
.LBB0_8:
	s_lshl_b64 s[0:1], s[10:11], 3
	v_mul_hi_u32 v2, 0xaaaaaaab, v1
	s_add_u32 s0, s12, s0
	s_addc_u32 s1, s13, s1
	s_load_dwordx2 s[4:5], s[4:5], 0x20
	s_load_dwordx2 s[0:1], s[0:1], 0x0
	v_mul_hi_u32 v5, 0xccccccd, v0
	v_lshrrev_b32_e32 v2, 1, v2
	v_lshl_add_u32 v2, v2, 1, v2
	v_sub_nc_u32_e32 v1, v1, v2
	s_waitcnt lgkmcnt(0)
	v_cmp_gt_u64_e32 vcc_lo, s[4:5], v[9:10]
	v_mul_lo_u32 v8, s0, v10
	v_mul_lo_u32 v11, s1, v9
	v_mad_u64_u32 v[6:7], null, s0, v9, v[3:4]
	v_mul_u32_u24_e32 v3, 20, v5
	v_mul_u32_u24_e32 v2, 0xc9, v1
	v_mov_b32_e32 v5, 0
	v_sub_nc_u32_e32 v4, v0, v3
	v_add3_u32 v7, v11, v7, v8
	v_lshlrev_b32_e32 v17, 4, v2
	v_mov_b32_e32 v8, v4
	v_lshlrev_b64 v[10:11], 4, v[6:7]
	s_and_saveexec_b32 s1, vcc_lo
	s_cbranch_execz .LBB0_12
; %bb.9:
	v_lshlrev_b64 v[0:1], 4, v[4:5]
	v_add_co_u32 v3, s0, s2, v10
	v_add_co_ci_u32_e64 v6, s0, s3, v11, s0
	v_or_b32_e32 v7, 0xa0, v4
	v_mov_b32_e32 v8, v5
	v_add_co_u32 v0, s0, v3, v0
	v_add_co_ci_u32_e64 v1, s0, v6, v1, s0
	v_lshlrev_b64 v[7:8], 4, v[7:8]
	v_add_co_u32 v50, s0, 0x800, v0
	v_add_co_ci_u32_e64 v51, s0, 0, v1, s0
	s_clause 0x3
	global_load_dwordx4 v[12:15], v[0:1], off
	global_load_dwordx4 v[18:21], v[0:1], off offset:320
	global_load_dwordx4 v[22:25], v[0:1], off offset:640
	;; [unrolled: 1-line block ×3, first 2 shown]
	v_add_co_u32 v7, s0, v3, v7
	v_add_co_ci_u32_e64 v8, s0, v6, v8, s0
	s_clause 0x5
	global_load_dwordx4 v[30:33], v[0:1], off offset:1280
	global_load_dwordx4 v[34:37], v[0:1], off offset:1600
	;; [unrolled: 1-line block ×4, first 2 shown]
	global_load_dwordx4 v[46:49], v[7:8], off
	global_load_dwordx4 v[50:53], v[50:51], off offset:832
	v_lshlrev_b32_e32 v0, 4, v4
	s_mov_b32 s4, exec_lo
	v_add3_u32 v7, 0, v17, v0
	v_mov_b32_e32 v0, v4
	v_mov_b32_e32 v1, v5
	s_waitcnt vmcnt(9)
	ds_write_b128 v7, v[12:15]
	s_waitcnt vmcnt(8)
	ds_write_b128 v7, v[18:21] offset:320
	s_waitcnt vmcnt(7)
	ds_write_b128 v7, v[22:25] offset:640
	;; [unrolled: 2-line block ×9, first 2 shown]
	v_cmpx_eq_u32_e32 19, v4
	s_cbranch_execz .LBB0_11
; %bb.10:
	v_add_co_u32 v0, s0, 0x800, v3
	v_add_co_ci_u32_e64 v1, s0, 0, v6, s0
	v_mov_b32_e32 v4, 19
	global_load_dwordx4 v[12:15], v[0:1], off offset:1152
	v_mov_b32_e32 v0, 19
	v_mov_b32_e32 v1, 0
	s_waitcnt vmcnt(0)
	ds_write_b128 v7, v[12:15] offset:2896
.LBB0_11:
	s_or_b32 exec_lo, exec_lo, s4
	v_mov_b32_e32 v8, v4
	v_mov_b32_e32 v5, v1
	;; [unrolled: 1-line block ×3, first 2 shown]
.LBB0_12:
	s_or_b32 exec_lo, exec_lo, s1
	v_lshl_add_u32 v16, v2, 4, 0
	v_lshlrev_b32_e32 v19, 4, v8
	s_waitcnt lgkmcnt(0)
	s_barrier
	buffer_gl0_inv
	v_lshlrev_b64 v[12:13], 4, v[4:5]
	v_add_nc_u32_e32 v18, v16, v19
	v_sub_nc_u32_e32 v20, v16, v19
	s_add_u32 s1, s8, 0xbe0
	s_addc_u32 s4, s9, 0
	ds_read_b64 v[6:7], v18
	ds_read_b64 v[14:15], v20 offset:3200
	s_mov_b32 s5, exec_lo
	s_waitcnt lgkmcnt(0)
	v_add_f64 v[0:1], v[6:7], v[14:15]
	v_add_f64 v[2:3], v[6:7], -v[14:15]
	v_cmpx_ne_u32_e32 0, v8
	s_xor_b32 s5, exec_lo, s5
	s_cbranch_execz .LBB0_14
; %bb.13:
	v_add_co_u32 v0, s0, s1, v12
	v_add_co_ci_u32_e64 v1, s0, s4, v13, s0
	v_add_f64 v[23:24], v[6:7], v[14:15]
	v_add_f64 v[14:15], v[6:7], -v[14:15]
	global_load_dwordx4 v[2:5], v[0:1], off
	ds_read_b64 v[0:1], v20 offset:3208
	ds_read_b64 v[21:22], v18 offset:8
	s_waitcnt lgkmcnt(0)
	v_add_f64 v[6:7], v[0:1], v[21:22]
	v_add_f64 v[0:1], v[21:22], -v[0:1]
	s_waitcnt vmcnt(0)
	v_fma_f64 v[21:22], v[14:15], v[4:5], v[23:24]
	v_fma_f64 v[23:24], -v[14:15], v[4:5], v[23:24]
	v_fma_f64 v[25:26], v[6:7], v[4:5], -v[0:1]
	v_fma_f64 v[27:28], v[6:7], v[4:5], v[0:1]
	v_fma_f64 v[0:1], -v[6:7], v[2:3], v[21:22]
	v_fma_f64 v[4:5], v[6:7], v[2:3], v[23:24]
	v_fma_f64 v[6:7], v[14:15], v[2:3], v[25:26]
	;; [unrolled: 1-line block ×3, first 2 shown]
	ds_write_b128 v20, v[4:7] offset:3200
.LBB0_14:
	s_andn2_saveexec_b32 s0, s5
	s_cbranch_execz .LBB0_16
; %bb.15:
	ds_read_b128 v[4:7], v16 offset:1600
	s_waitcnt lgkmcnt(0)
	v_add_f64 v[4:5], v[4:5], v[4:5]
	v_mul_f64 v[6:7], v[6:7], -2.0
	ds_write_b128 v16, v[4:7] offset:1600
.LBB0_16:
	s_or_b32 exec_lo, exec_lo, s0
	v_mov_b32_e32 v9, 0
	v_add3_u32 v19, 0, v19, v17
	s_mov_b32 s18, 0x134454ff
	s_mov_b32 s19, 0xbfee6f0e
	;; [unrolled: 1-line block ×3, first 2 shown]
	v_lshlrev_b64 v[14:15], 4, v[8:9]
	s_mov_b32 s20, 0x4755a5e
	s_mov_b32 s21, 0xbfe2cf23
	s_mov_b32 s7, 0x3fe2cf23
	s_mov_b32 s6, s20
	s_mov_b32 s10, 0x372fe950
	v_add_co_u32 v33, s0, s1, v14
	v_add_co_ci_u32_e64 v34, s0, s4, v15, s0
	s_mov_b32 s4, s18
	s_mov_b32 s11, 0x3fd3c6ef
	;; [unrolled: 1-line block ×3, first 2 shown]
	s_clause 0x2
	global_load_dwordx4 v[4:7], v[33:34], off offset:320
	global_load_dwordx4 v[21:24], v[33:34], off offset:640
	;; [unrolled: 1-line block ×3, first 2 shown]
	ds_write_b128 v18, v[0:3]
	ds_read_b128 v[0:3], v18 offset:320
	ds_read_b128 v[29:32], v20 offset:2880
	global_load_dwordx4 v[33:36], v[33:34], off offset:1280
	s_mov_b32 s15, 0xbfd3c6ef
	s_mov_b32 s14, s10
	;; [unrolled: 1-line block ×5, first 2 shown]
	v_cmp_gt_u32_e64 s0, 10, v8
	s_waitcnt lgkmcnt(0)
	v_add_f64 v[37:38], v[0:1], v[29:30]
	v_add_f64 v[39:40], v[31:32], v[2:3]
	v_add_f64 v[41:42], v[0:1], -v[29:30]
	v_add_f64 v[0:1], v[2:3], -v[31:32]
	s_waitcnt vmcnt(3)
	v_fma_f64 v[2:3], v[41:42], v[6:7], v[37:38]
	v_fma_f64 v[29:30], v[39:40], v[6:7], v[0:1]
	v_fma_f64 v[31:32], -v[41:42], v[6:7], v[37:38]
	v_fma_f64 v[6:7], v[39:40], v[6:7], -v[0:1]
	v_fma_f64 v[0:1], -v[39:40], v[4:5], v[2:3]
	v_fma_f64 v[2:3], v[41:42], v[4:5], v[29:30]
	v_fma_f64 v[29:30], v[39:40], v[4:5], v[31:32]
	v_fma_f64 v[31:32], v[41:42], v[4:5], v[6:7]
	ds_write_b128 v18, v[0:3] offset:320
	ds_write_b128 v20, v[29:32] offset:2880
	ds_read_b128 v[0:3], v18 offset:640
	ds_read_b128 v[4:7], v20 offset:2560
	s_waitcnt lgkmcnt(0)
	v_add_f64 v[29:30], v[0:1], v[4:5]
	v_add_f64 v[31:32], v[6:7], v[2:3]
	v_add_f64 v[37:38], v[0:1], -v[4:5]
	v_add_f64 v[0:1], v[2:3], -v[6:7]
	s_waitcnt vmcnt(2)
	v_fma_f64 v[2:3], v[37:38], v[23:24], v[29:30]
	v_fma_f64 v[4:5], v[31:32], v[23:24], v[0:1]
	v_fma_f64 v[6:7], -v[37:38], v[23:24], v[29:30]
	v_fma_f64 v[23:24], v[31:32], v[23:24], -v[0:1]
	v_fma_f64 v[0:1], -v[31:32], v[21:22], v[2:3]
	v_fma_f64 v[2:3], v[37:38], v[21:22], v[4:5]
	v_fma_f64 v[4:5], v[31:32], v[21:22], v[6:7]
	v_fma_f64 v[6:7], v[37:38], v[21:22], v[23:24]
	ds_write_b128 v18, v[0:3] offset:640
	ds_write_b128 v20, v[4:7] offset:2560
	ds_read_b128 v[0:3], v18 offset:960
	ds_read_b128 v[4:7], v20 offset:2240
	;; [unrolled: 18-line block ×3, first 2 shown]
	s_waitcnt lgkmcnt(0)
	v_add_f64 v[21:22], v[0:1], v[4:5]
	v_add_f64 v[23:24], v[6:7], v[2:3]
	v_add_f64 v[25:26], v[0:1], -v[4:5]
	v_add_f64 v[0:1], v[2:3], -v[6:7]
	s_waitcnt vmcnt(0)
	v_fma_f64 v[2:3], v[25:26], v[35:36], v[21:22]
	v_fma_f64 v[4:5], v[23:24], v[35:36], v[0:1]
	v_fma_f64 v[6:7], -v[25:26], v[35:36], v[21:22]
	v_fma_f64 v[21:22], v[23:24], v[35:36], -v[0:1]
	v_fma_f64 v[0:1], -v[23:24], v[33:34], v[2:3]
	v_fma_f64 v[2:3], v[25:26], v[33:34], v[4:5]
	v_fma_f64 v[4:5], v[23:24], v[33:34], v[6:7]
	;; [unrolled: 1-line block ×3, first 2 shown]
	ds_write_b128 v18, v[0:3] offset:1280
	ds_write_b128 v20, v[4:7] offset:1920
	s_waitcnt lgkmcnt(0)
	s_barrier
	buffer_gl0_inv
	s_barrier
	buffer_gl0_inv
	ds_read_b128 v[20:23], v18
	ds_read_b128 v[24:27], v19 offset:640
	ds_read_b128 v[28:31], v19 offset:1280
	;; [unrolled: 1-line block ×9, first 2 shown]
	s_waitcnt lgkmcnt(0)
	s_barrier
	buffer_gl0_inv
	v_add_f64 v[52:53], v[20:21], v[24:25]
	v_add_f64 v[54:55], v[22:23], v[26:27]
	;; [unrolled: 1-line block ×10, first 2 shown]
	v_add_f64 v[66:67], v[26:27], -v[2:3]
	v_add_f64 v[68:69], v[24:25], -v[28:29]
	;; [unrolled: 1-line block ×8, first 2 shown]
	v_add_f64 v[86:87], v[48:49], v[36:37]
	v_add_f64 v[88:89], v[50:51], v[38:39]
	v_add_f64 v[90:91], v[32:33], -v[0:1]
	v_add_f64 v[92:93], v[36:37], -v[40:41]
	v_add_f64 v[28:29], v[52:53], v[28:29]
	v_add_f64 v[30:31], v[54:55], v[30:31]
	v_add_f64 v[52:53], v[40:41], -v[36:37]
	v_add_f64 v[54:55], v[40:41], -v[44:45]
	v_fma_f64 v[56:57], v[56:57], -0.5, v[20:21]
	v_fma_f64 v[20:21], v[58:59], -0.5, v[20:21]
	;; [unrolled: 1-line block ×5, first 2 shown]
	v_add_f64 v[60:61], v[38:39], -v[42:43]
	v_add_f64 v[62:63], v[42:43], -v[38:39]
	v_fma_f64 v[74:75], v[74:75], -0.5, v[48:49]
	v_fma_f64 v[48:49], v[76:77], -0.5, v[48:49]
	;; [unrolled: 1-line block ×3, first 2 shown]
	v_add_f64 v[76:77], v[4:5], -v[44:45]
	v_add_f64 v[36:37], v[36:37], -v[4:5]
	;; [unrolled: 1-line block ×4, first 2 shown]
	v_add_f64 v[40:41], v[86:87], v[40:41]
	v_add_f64 v[86:87], v[88:89], v[42:43]
	v_add_f64 v[42:43], v[42:43], -v[46:47]
	v_add_f64 v[88:89], v[46:47], -v[6:7]
	v_add_f64 v[68:69], v[68:69], v[84:85]
	v_add_f64 v[70:71], v[70:71], v[90:91]
	v_add_f64 v[24:25], v[24:25], -v[0:1]
	v_add_f64 v[28:29], v[28:29], v[32:33]
	v_add_f64 v[30:31], v[30:31], v[34:35]
	v_fma_f64 v[84:85], v[54:55], s[18:19], v[64:65]
	v_fma_f64 v[64:65], v[54:55], s[4:5], v[64:65]
	v_add_f64 v[76:77], v[92:93], v[76:77]
	v_fma_f64 v[90:91], v[36:37], s[4:5], v[50:51]
	v_fma_f64 v[92:93], v[38:39], s[18:19], v[74:75]
	v_fma_f64 v[50:51], v[36:37], s[18:19], v[50:51]
	v_add_f64 v[60:61], v[60:61], v[78:79]
	v_add_f64 v[78:79], v[2:3], -v[34:35]
	v_fma_f64 v[74:75], v[38:39], s[4:5], v[74:75]
	v_add_f64 v[62:63], v[62:63], v[88:89]
	v_add_f64 v[88:89], v[44:45], -v[4:5]
	v_add_f64 v[32:33], v[40:41], v[44:45]
	v_add_f64 v[28:29], v[28:29], v[0:1]
	v_add_f64 v[30:31], v[30:31], v[2:3]
	v_fma_f64 v[84:85], v[36:37], s[6:7], v[84:85]
	v_fma_f64 v[36:37], v[36:37], s[20:21], v[64:65]
	;; [unrolled: 1-line block ×9, first 2 shown]
	v_add_f64 v[72:73], v[72:73], v[78:79]
	v_add_f64 v[78:79], v[34:35], -v[2:3]
	v_add_f64 v[52:53], v[52:53], v[88:89]
	v_fma_f64 v[88:89], v[80:81], s[4:5], v[20:21]
	v_fma_f64 v[20:21], v[80:81], s[18:19], v[20:21]
	;; [unrolled: 1-line block ×3, first 2 shown]
	v_add_f64 v[34:35], v[86:87], v[46:47]
	v_add_f64 v[4:5], v[32:33], v[4:5]
	v_fma_f64 v[84:85], v[62:63], s[10:11], v[84:85]
	v_fma_f64 v[36:37], v[62:63], s[10:11], v[36:37]
	;; [unrolled: 1-line block ×8, first 2 shown]
	v_add_nc_u32_e32 v74, -10, v8
	v_fma_f64 v[90:91], v[60:61], s[10:11], v[90:91]
	v_fma_f64 v[92:93], v[76:77], s[10:11], v[92:93]
	;; [unrolled: 1-line block ×5, first 2 shown]
	v_add_f64 v[26:27], v[26:27], v[78:79]
	v_fma_f64 v[46:47], v[66:67], s[20:21], v[88:89]
	v_fma_f64 v[20:21], v[66:67], s[6:7], v[20:21]
	;; [unrolled: 1-line block ×3, first 2 shown]
	v_add_f64 v[6:7], v[34:35], v[6:7]
	v_add_f64 v[0:1], v[28:29], v[4:5]
	v_add_f64 v[4:5], v[28:29], -v[4:5]
	v_fma_f64 v[48:49], v[82:83], s[6:7], v[48:49]
	v_fma_f64 v[54:55], v[82:83], s[20:21], v[58:59]
	;; [unrolled: 1-line block ×4, first 2 shown]
	v_mul_f64 v[62:63], v[84:85], s[18:19]
	v_mul_f64 v[60:61], v[90:91], s[20:21]
	;; [unrolled: 1-line block ×3, first 2 shown]
	v_fma_f64 v[22:23], v[24:25], s[20:21], v[22:23]
	v_fma_f64 v[24:25], v[52:53], s[10:11], v[38:39]
	v_mul_f64 v[52:53], v[84:85], s[10:11]
	v_mul_f64 v[38:39], v[36:37], s[18:19]
	;; [unrolled: 1-line block ×5, first 2 shown]
	v_fma_f64 v[32:33], v[68:69], s[10:11], v[40:41]
	v_fma_f64 v[68:69], v[68:69], s[10:11], v[44:45]
	;; [unrolled: 1-line block ×4, first 2 shown]
	v_cndmask_b32_e64 v21, v74, v8, s0
	v_add_f64 v[2:3], v[30:31], v[6:7]
	v_add_f64 v[6:7], v[30:31], -v[6:7]
	v_mad_u32_u24 v20, 0x90, v8, v19
	v_fma_f64 v[34:35], v[72:73], s[10:11], v[48:49]
	v_fma_f64 v[54:55], v[72:73], s[10:11], v[54:55]
	v_mov_b32_e32 v73, v9
	v_fma_f64 v[56:57], v[26:27], s[10:11], v[56:57]
	v_fma_f64 v[48:49], v[58:59], s[10:11], v[62:63]
	;; [unrolled: 1-line block ×4, first 2 shown]
	v_mul_i32_i24_e32 v72, 9, v21
	v_fma_f64 v[52:53], v[58:59], s[4:5], v[52:53]
	v_fma_f64 v[62:63], v[24:25], s[14:15], v[38:39]
	;; [unrolled: 1-line block ×6, first 2 shown]
	v_add_f64 v[26:27], v[40:41], v[48:49]
	v_add_f64 v[22:23], v[32:33], v[44:45]
	;; [unrolled: 1-line block ×3, first 2 shown]
	v_add_f64 v[30:31], v[32:33], -v[44:45]
	v_add_f64 v[32:33], v[34:35], -v[60:61]
	v_add_f64 v[28:29], v[56:57], v[52:53]
	v_add_f64 v[34:35], v[46:47], v[62:63]
	v_add_f64 v[38:39], v[40:41], -v[48:49]
	v_add_f64 v[42:43], v[68:69], v[64:65]
	v_add_f64 v[36:37], v[58:59], v[66:67]
	;; [unrolled: 1-line block ×3, first 2 shown]
	v_add_f64 v[40:41], v[56:57], -v[52:53]
	v_add_f64 v[46:47], v[46:47], -v[62:63]
	;; [unrolled: 1-line block ×5, first 2 shown]
	v_lshlrev_b64 v[54:55], 4, v[72:73]
	ds_write_b128 v20, v[0:3]
	ds_write_b128 v20, v[4:7] offset:80
	ds_write_b128 v20, v[22:25] offset:16
	;; [unrolled: 1-line block ×9, first 2 shown]
	v_add_co_u32 v54, s0, s8, v54
	v_add_co_ci_u32_e64 v55, s0, s9, v55, s0
	s_waitcnt lgkmcnt(0)
	s_barrier
	buffer_gl0_inv
	s_clause 0x8
	global_load_dwordx4 v[0:3], v[54:55], off offset:16
	global_load_dwordx4 v[4:7], v[54:55], off offset:48
	global_load_dwordx4 v[22:25], v[54:55], off offset:80
	global_load_dwordx4 v[26:29], v[54:55], off offset:112
	global_load_dwordx4 v[30:33], v[54:55], off offset:32
	global_load_dwordx4 v[34:37], v[54:55], off offset:64
	global_load_dwordx4 v[38:41], v[54:55], off offset:96
	global_load_dwordx4 v[42:45], v[54:55], off offset:128
	global_load_dwordx4 v[46:49], v[54:55], off
	v_mad_i32_i24 v20, 0xffffff70, v8, v20
	ds_read_b128 v[50:53], v20 offset:640
	ds_read_b128 v[54:57], v20 offset:1280
	;; [unrolled: 1-line block ×8, first 2 shown]
	v_cmp_lt_u32_e64 s0, 9, v8
	s_waitcnt vmcnt(8) lgkmcnt(7)
	v_mul_f64 v[82:83], v[52:53], v[2:3]
	v_mul_f64 v[2:3], v[50:51], v[2:3]
	s_waitcnt vmcnt(7) lgkmcnt(6)
	v_mul_f64 v[84:85], v[56:57], v[6:7]
	v_mul_f64 v[6:7], v[54:55], v[6:7]
	s_waitcnt vmcnt(6) lgkmcnt(5)
	v_mul_f64 v[86:87], v[60:61], v[24:25]
	v_mul_f64 v[24:25], v[58:59], v[24:25]
	v_fma_f64 v[82:83], v[50:51], v[0:1], v[82:83]
	v_fma_f64 v[88:89], v[52:53], v[0:1], -v[2:3]
	s_waitcnt vmcnt(5) lgkmcnt(4)
	v_mul_f64 v[0:1], v[64:65], v[28:29]
	v_mul_f64 v[2:3], v[62:63], v[28:29]
	v_fma_f64 v[28:29], v[54:55], v[4:5], v[84:85]
	v_fma_f64 v[84:85], v[56:57], v[4:5], -v[6:7]
	ds_read_b128 v[54:57], v18
	s_waitcnt vmcnt(4) lgkmcnt(4)
	v_mul_f64 v[4:5], v[68:69], v[32:33]
	s_waitcnt vmcnt(3) lgkmcnt(3)
	v_mul_f64 v[6:7], v[72:73], v[36:37]
	v_fma_f64 v[58:59], v[58:59], v[22:23], v[86:87]
	v_fma_f64 v[22:23], v[60:61], v[22:23], -v[24:25]
	v_mul_f64 v[24:25], v[70:71], v[36:37]
	s_waitcnt vmcnt(2) lgkmcnt(2)
	v_mul_f64 v[36:37], v[76:77], v[40:41]
	s_waitcnt vmcnt(1) lgkmcnt(1)
	v_mul_f64 v[60:61], v[80:81], v[44:45]
	v_mul_f64 v[40:41], v[74:75], v[40:41]
	ds_read_b128 v[50:53], v20 offset:320
	s_waitcnt vmcnt(0) lgkmcnt(0)
	s_barrier
	buffer_gl0_inv
	v_fma_f64 v[0:1], v[62:63], v[26:27], v[0:1]
	v_fma_f64 v[2:3], v[64:65], v[26:27], -v[2:3]
	v_mul_f64 v[26:27], v[66:67], v[32:33]
	v_mul_f64 v[32:33], v[78:79], v[44:45]
	v_add_f64 v[90:91], v[54:55], v[82:83]
	v_fma_f64 v[62:63], v[66:67], v[30:31], v[4:5]
	v_fma_f64 v[64:65], v[70:71], v[34:35], v[6:7]
	v_add_f64 v[92:93], v[56:57], v[88:89]
	v_fma_f64 v[24:25], v[72:73], v[34:35], -v[24:25]
	v_fma_f64 v[34:35], v[74:75], v[38:39], v[36:37]
	v_mul_f64 v[44:45], v[52:53], v[48:49]
	v_mul_f64 v[48:49], v[50:51], v[48:49]
	v_fma_f64 v[4:5], v[78:79], v[42:43], v[60:61]
	v_fma_f64 v[36:37], v[76:77], v[38:39], -v[40:41]
	v_add_f64 v[40:41], v[84:85], v[22:23]
	v_add_f64 v[60:61], v[88:89], -v[84:85]
	v_add_f64 v[38:39], v[82:83], v[0:1]
	v_add_f64 v[66:67], v[2:3], -v[22:23]
	v_fma_f64 v[26:27], v[68:69], v[30:31], -v[26:27]
	v_fma_f64 v[6:7], v[80:81], v[42:43], -v[32:33]
	v_add_f64 v[32:33], v[28:29], v[58:59]
	v_add_f64 v[42:43], v[88:89], v[2:3]
	v_add_f64 v[68:69], v[84:85], -v[88:89]
	v_add_f64 v[70:71], v[22:23], -v[2:3]
	;; [unrolled: 1-line block ×4, first 2 shown]
	v_add_f64 v[92:93], v[92:93], v[84:85]
	v_fma_f64 v[30:31], v[50:51], v[46:47], v[44:45]
	v_fma_f64 v[44:45], v[52:53], v[46:47], -v[48:49]
	v_add_f64 v[46:47], v[82:83], -v[28:29]
	v_add_f64 v[48:49], v[0:1], -v[58:59]
	;; [unrolled: 1-line block ×5, first 2 shown]
	v_add_f64 v[76:77], v[24:25], v[36:37]
	v_add_f64 v[80:81], v[34:35], -v[4:5]
	v_fma_f64 v[40:41], v[40:41], -0.5, v[56:57]
	v_add_f64 v[84:85], v[84:85], -v[22:23]
	v_fma_f64 v[38:39], v[38:39], -0.5, v[54:55]
	v_add_f64 v[60:61], v[60:61], v[66:67]
	v_add_f64 v[66:67], v[64:65], v[34:35]
	;; [unrolled: 1-line block ×3, first 2 shown]
	v_fma_f64 v[32:33], v[32:33], -0.5, v[54:55]
	v_fma_f64 v[42:43], v[42:43], -0.5, v[56:57]
	v_add_f64 v[54:55], v[26:27], -v[24:25]
	v_add_f64 v[56:57], v[6:7], -v[36:37]
	v_add_f64 v[68:69], v[68:69], v[70:71]
	v_add_f64 v[70:71], v[62:63], -v[4:5]
	v_add_f64 v[88:89], v[88:89], -v[2:3]
	;; [unrolled: 1-line block ×3, first 2 shown]
	v_add_f64 v[90:91], v[90:91], v[28:29]
	v_add_f64 v[28:29], v[28:29], -v[58:59]
	v_add_f64 v[46:47], v[46:47], v[48:49]
	v_add_f64 v[48:49], v[24:25], -v[26:27]
	;; [unrolled: 2-line block ×3, first 2 shown]
	v_add_f64 v[72:73], v[72:73], v[74:75]
	v_fma_f64 v[74:75], v[76:77], -0.5, v[44:45]
	v_add_f64 v[76:77], v[62:63], v[4:5]
	v_add_f64 v[78:79], v[78:79], v[80:81]
	v_add_f64 v[80:81], v[64:65], -v[34:35]
	v_add_f64 v[62:63], v[30:31], v[62:63]
	v_add_f64 v[22:23], v[92:93], v[22:23]
	v_fma_f64 v[86:87], v[86:87], -0.5, v[44:45]
	v_add_f64 v[44:45], v[44:45], v[26:27]
	v_add_f64 v[26:27], v[26:27], -v[6:7]
	v_add_f64 v[54:55], v[54:55], v[56:57]
	v_add_f64 v[56:57], v[24:25], -v[36:37]
	v_add_f64 v[48:49], v[48:49], v[52:53]
	v_fma_f64 v[52:53], v[70:71], s[4:5], v[74:75]
	v_fma_f64 v[74:75], v[70:71], s[18:19], v[74:75]
	v_fma_f64 v[76:77], v[76:77], -0.5, v[30:31]
	v_fma_f64 v[30:31], v[66:67], -0.5, v[30:31]
	v_add_f64 v[62:63], v[62:63], v[64:65]
	v_fma_f64 v[64:65], v[84:85], s[4:5], v[38:39]
	v_fma_f64 v[66:67], v[80:81], s[18:19], v[86:87]
	v_fma_f64 v[86:87], v[80:81], s[4:5], v[86:87]
	v_add_f64 v[24:25], v[44:45], v[24:25]
	v_fma_f64 v[44:45], v[88:89], s[18:19], v[32:33]
	v_fma_f64 v[32:33], v[88:89], s[4:5], v[32:33]
	v_fma_f64 v[38:39], v[84:85], s[18:19], v[38:39]
	v_add_f64 v[22:23], v[22:23], v[2:3]
	v_fma_f64 v[52:53], v[80:81], s[6:7], v[52:53]
	v_fma_f64 v[74:75], v[80:81], s[20:21], v[74:75]
	v_fma_f64 v[80:81], v[56:57], s[4:5], v[76:77]
	v_fma_f64 v[76:77], v[56:57], s[18:19], v[76:77]
	v_add_f64 v[34:35], v[62:63], v[34:35]
	v_fma_f64 v[66:67], v[70:71], s[6:7], v[66:67]
	v_fma_f64 v[70:71], v[70:71], s[20:21], v[86:87]
	;; [unrolled: 1-line block ×4, first 2 shown]
	v_add_f64 v[24:25], v[24:25], v[36:37]
	v_fma_f64 v[36:37], v[84:85], s[20:21], v[44:45]
	v_fma_f64 v[32:33], v[84:85], s[6:7], v[32:33]
	;; [unrolled: 1-line block ×16, first 2 shown]
	v_add_f64 v[56:57], v[90:91], v[58:59]
	v_add_f64 v[4:5], v[34:35], v[4:5]
	;; [unrolled: 1-line block ×3, first 2 shown]
	v_fma_f64 v[34:35], v[46:47], s[10:11], v[36:37]
	v_fma_f64 v[36:37], v[50:51], s[10:11], v[44:45]
	v_fma_f64 v[50:51], v[50:51], s[10:11], v[38:39]
	v_mul_f64 v[64:65], v[52:53], s[20:21]
	v_mul_f64 v[52:53], v[52:53], s[16:17]
	v_fma_f64 v[62:63], v[78:79], s[10:11], v[80:81]
	v_fma_f64 v[26:27], v[78:79], s[10:11], v[26:27]
	v_fma_f64 v[58:59], v[28:29], s[6:7], v[76:77]
	v_fma_f64 v[28:29], v[28:29], s[20:21], v[40:41]
	v_mul_f64 v[74:75], v[66:67], s[18:19]
	v_mul_f64 v[66:67], v[66:67], s[10:11]
	v_fma_f64 v[40:41], v[72:73], s[10:11], v[86:87]
	v_fma_f64 v[70:71], v[82:83], s[6:7], v[70:71]
	v_mul_f64 v[76:77], v[48:49], s[18:19]
	v_fma_f64 v[42:43], v[82:83], s[20:21], v[42:43]
	v_mul_f64 v[48:49], v[48:49], s[14:15]
	;; [unrolled: 2-line block ×3, first 2 shown]
	v_mul_f64 v[54:55], v[54:55], s[12:13]
	v_add_f64 v[56:57], v[56:57], v[0:1]
	v_fma_f64 v[78:79], v[46:47], s[10:11], v[32:33]
	v_add_f64 v[2:3], v[22:23], v[6:7]
	v_add_f64 v[6:7], v[22:23], -v[6:7]
	v_cndmask_b32_e64 v80, 0, 0x640, s0
	v_add_co_u32 v12, s0, s8, v12
	v_add_co_ci_u32_e64 v13, s0, s9, v13, s0
	v_add_co_u32 v14, s0, s8, v14
	v_fma_f64 v[32:33], v[60:61], s[10:11], v[58:59]
	v_fma_f64 v[46:47], v[62:63], s[10:11], v[74:75]
	;; [unrolled: 1-line block ×12, first 2 shown]
	v_add_f64 v[0:1], v[56:57], v[4:5]
	v_add_f64 v[4:5], v[56:57], -v[4:5]
	v_lshlrev_b32_e32 v71, 4, v21
	v_add_nc_u32_e32 v70, 0, v80
	v_add_co_ci_u32_e64 v15, s0, s9, v15, s0
	v_add3_u32 v17, v70, v71, v17
	v_add_f64 v[25:26], v[36:37], v[46:47]
	v_add_f64 v[37:38], v[36:37], -v[46:47]
	v_add_f64 v[21:22], v[34:35], v[44:45]
	v_add_f64 v[23:24], v[32:33], v[40:41]
	v_add_f64 v[27:28], v[52:53], v[62:63]
	v_add_f64 v[29:30], v[34:35], -v[44:45]
	v_add_f64 v[31:32], v[32:33], -v[40:41]
	v_add_f64 v[33:34], v[50:51], v[58:59]
	v_add_f64 v[35:36], v[64:65], v[68:69]
	;; [unrolled: 1-line block ×4, first 2 shown]
	v_add_f64 v[39:40], v[52:53], -v[62:63]
	v_add_f64 v[45:46], v[50:51], -v[58:59]
	;; [unrolled: 1-line block ×5, first 2 shown]
	v_add_co_u32 v53, s0, 0x800, v14
	v_add_co_ci_u32_e64 v54, s0, 0, v15, s0
	ds_write_b128 v17, v[0:3]
	ds_write_b128 v17, v[4:7] offset:800
	ds_write_b128 v17, v[21:24] offset:160
	;; [unrolled: 1-line block ×9, first 2 shown]
	s_waitcnt lgkmcnt(0)
	s_barrier
	buffer_gl0_inv
	s_clause 0x4
	global_load_dwordx4 v[0:3], v[12:13], off offset:1440
	global_load_dwordx4 v[4:7], v[14:15], off offset:1760
	;; [unrolled: 1-line block ×5, first 2 shown]
	ds_read_b128 v[29:32], v19 offset:1600
	ds_read_b128 v[33:36], v19 offset:1920
	;; [unrolled: 1-line block ×5, first 2 shown]
	ds_read_b128 v[49:52], v18
	ds_read_b128 v[53:56], v20 offset:320
	ds_read_b128 v[57:60], v20 offset:640
	s_waitcnt vmcnt(4) lgkmcnt(7)
	v_mul_f64 v[17:18], v[31:32], v[2:3]
	v_mul_f64 v[2:3], v[29:30], v[2:3]
	s_waitcnt vmcnt(3) lgkmcnt(6)
	v_mul_f64 v[61:62], v[35:36], v[6:7]
	v_mul_f64 v[6:7], v[33:34], v[6:7]
	;; [unrolled: 3-line block ×5, first 2 shown]
	v_fma_f64 v[17:18], v[29:30], v[0:1], v[17:18]
	v_fma_f64 v[29:30], v[31:32], v[0:1], -v[2:3]
	v_fma_f64 v[31:32], v[33:34], v[4:5], v[61:62]
	v_fma_f64 v[33:34], v[35:36], v[4:5], -v[6:7]
	;; [unrolled: 2-line block ×4, first 2 shown]
	v_fma_f64 v[23:24], v[45:46], v[25:26], v[67:68]
	ds_read_b128 v[0:3], v20 offset:960
	ds_read_b128 v[4:7], v20 offset:1280
	v_fma_f64 v[25:26], v[47:48], v[25:26], -v[27:28]
	v_add_nc_u32_e32 v47, 0x800, v20
	s_waitcnt lgkmcnt(0)
	s_barrier
	buffer_gl0_inv
	v_add_f64 v[12:13], v[49:50], -v[17:18]
	v_add_f64 v[14:15], v[51:52], -v[29:30]
	;; [unrolled: 1-line block ×10, first 2 shown]
	v_fma_f64 v[21:22], v[49:50], 2.0, -v[12:13]
	v_fma_f64 v[23:24], v[51:52], 2.0, -v[14:15]
	;; [unrolled: 1-line block ×10, first 2 shown]
	ds_write_b128 v19, v[12:15] offset:1600
	ds_write_b128 v19, v[21:24]
	ds_write_b128 v20, v[25:28] offset:320
	ds_write2_b64 v20, v[17:18], v[33:34] offset0:240 offset1:241
	ds_write_b128 v20, v[29:32] offset:640
	ds_write2_b64 v47, v[35:36], v[37:38] offset0:24 offset1:25
	;; [unrolled: 2-line block ×4, first 2 shown]
	s_waitcnt lgkmcnt(0)
	s_barrier
	buffer_gl0_inv
	s_and_saveexec_b32 s0, vcc_lo
	s_cbranch_execz .LBB0_18
; %bb.17:
	v_lshl_add_u32 v32, v8, 4, v16
	v_add_nc_u32_e32 v12, 20, v8
	v_mov_b32_e32 v13, v9
	v_add_co_u32 v33, vcc_lo, s2, v10
	v_lshlrev_b64 v[14:15], 4, v[8:9]
	ds_read_b128 v[0:3], v32
	ds_read_b128 v[4:7], v32 offset:320
	v_add_co_ci_u32_e32 v34, vcc_lo, s3, v11, vcc_lo
	v_lshlrev_b64 v[16:17], 4, v[12:13]
	ds_read_b128 v[10:13], v32 offset:640
	v_add_nc_u32_e32 v18, 40, v8
	v_mov_b32_e32 v19, v9
	v_add_co_u32 v22, vcc_lo, v33, v14
	v_add_co_ci_u32_e32 v23, vcc_lo, v34, v15, vcc_lo
	v_lshlrev_b64 v[14:15], 4, v[18:19]
	v_add_nc_u32_e32 v18, 60, v8
	v_add_co_u32 v24, vcc_lo, v33, v16
	v_add_co_ci_u32_e32 v25, vcc_lo, v34, v17, vcc_lo
	v_lshlrev_b64 v[28:29], 4, v[18:19]
	ds_read_b128 v[18:21], v32 offset:1280
	v_add_co_u32 v26, vcc_lo, v33, v14
	v_add_nc_u32_e32 v30, 0x50, v8
	v_mov_b32_e32 v31, v9
	v_add_co_ci_u32_e32 v27, vcc_lo, v34, v15, vcc_lo
	ds_read_b128 v[14:17], v32 offset:960
	s_waitcnt lgkmcnt(4)
	global_store_dwordx4 v[22:23], v[0:3], off
	s_waitcnt lgkmcnt(3)
	global_store_dwordx4 v[24:25], v[4:7], off
	;; [unrolled: 2-line block ×3, first 2 shown]
	v_lshlrev_b64 v[0:1], 4, v[30:31]
	v_add_co_u32 v2, vcc_lo, v33, v28
	v_add_co_ci_u32_e32 v3, vcc_lo, v34, v29, vcc_lo
	v_add_nc_u32_e32 v4, 0x64, v8
	v_mov_b32_e32 v5, v9
	v_add_co_u32 v6, vcc_lo, v33, v0
	v_add_co_ci_u32_e32 v7, vcc_lo, v34, v1, vcc_lo
	v_add_nc_u32_e32 v10, 0x78, v8
	v_mov_b32_e32 v11, v9
	v_lshlrev_b64 v[4:5], 4, v[4:5]
	s_waitcnt lgkmcnt(1)
	global_store_dwordx4 v[6:7], v[18:21], off
	v_add_nc_u32_e32 v26, 0xa0, v8
	v_mov_b32_e32 v27, v9
	v_lshlrev_b64 v[6:7], 4, v[10:11]
	s_waitcnt lgkmcnt(0)
	global_store_dwordx4 v[2:3], v[14:17], off
	v_add_co_u32 v22, vcc_lo, v33, v4
	v_add_nc_u32_e32 v14, 0x8c, v8
	v_mov_b32_e32 v15, v9
	v_add_co_ci_u32_e32 v23, vcc_lo, v34, v5, vcc_lo
	v_add_co_u32 v24, vcc_lo, v33, v6
	ds_read_b128 v[0:3], v32 offset:1600
	v_add_co_ci_u32_e32 v25, vcc_lo, v34, v7, vcc_lo
	ds_read_b128 v[4:7], v32 offset:1920
	ds_read_b128 v[10:13], v32 offset:2240
	v_lshlrev_b64 v[28:29], 4, v[14:15]
	ds_read_b128 v[14:17], v32 offset:2560
	ds_read_b128 v[18:21], v32 offset:2880
	v_add_nc_u32_e32 v8, 0xb4, v8
	v_lshlrev_b64 v[26:27], 4, v[26:27]
	v_add_co_u32 v28, vcc_lo, v33, v28
	v_lshlrev_b64 v[8:9], 4, v[8:9]
	v_add_co_ci_u32_e32 v29, vcc_lo, v34, v29, vcc_lo
	v_add_co_u32 v26, vcc_lo, v33, v26
	v_add_co_ci_u32_e32 v27, vcc_lo, v34, v27, vcc_lo
	v_add_co_u32 v8, vcc_lo, v33, v8
	v_add_co_ci_u32_e32 v9, vcc_lo, v34, v9, vcc_lo
	s_waitcnt lgkmcnt(4)
	global_store_dwordx4 v[22:23], v[0:3], off
	s_waitcnt lgkmcnt(3)
	global_store_dwordx4 v[24:25], v[4:7], off
	s_waitcnt lgkmcnt(2)
	global_store_dwordx4 v[28:29], v[10:13], off
	s_waitcnt lgkmcnt(1)
	global_store_dwordx4 v[26:27], v[14:17], off
	s_waitcnt lgkmcnt(0)
	global_store_dwordx4 v[8:9], v[18:21], off
.LBB0_18:
	s_endpgm
	.section	.rodata,"a",@progbits
	.p2align	6, 0x0
	.amdhsa_kernel fft_rtc_back_len200_factors_10_10_2_wgs_60_tpt_20_halfLds_dp_ip_CI_unitstride_sbrr_C2R_dirReg
		.amdhsa_group_segment_fixed_size 0
		.amdhsa_private_segment_fixed_size 0
		.amdhsa_kernarg_size 88
		.amdhsa_user_sgpr_count 6
		.amdhsa_user_sgpr_private_segment_buffer 1
		.amdhsa_user_sgpr_dispatch_ptr 0
		.amdhsa_user_sgpr_queue_ptr 0
		.amdhsa_user_sgpr_kernarg_segment_ptr 1
		.amdhsa_user_sgpr_dispatch_id 0
		.amdhsa_user_sgpr_flat_scratch_init 0
		.amdhsa_user_sgpr_private_segment_size 0
		.amdhsa_wavefront_size32 1
		.amdhsa_uses_dynamic_stack 0
		.amdhsa_system_sgpr_private_segment_wavefront_offset 0
		.amdhsa_system_sgpr_workgroup_id_x 1
		.amdhsa_system_sgpr_workgroup_id_y 0
		.amdhsa_system_sgpr_workgroup_id_z 0
		.amdhsa_system_sgpr_workgroup_info 0
		.amdhsa_system_vgpr_workitem_id 0
		.amdhsa_next_free_vgpr 94
		.amdhsa_next_free_sgpr 22
		.amdhsa_reserve_vcc 1
		.amdhsa_reserve_flat_scratch 0
		.amdhsa_float_round_mode_32 0
		.amdhsa_float_round_mode_16_64 0
		.amdhsa_float_denorm_mode_32 3
		.amdhsa_float_denorm_mode_16_64 3
		.amdhsa_dx10_clamp 1
		.amdhsa_ieee_mode 1
		.amdhsa_fp16_overflow 0
		.amdhsa_workgroup_processor_mode 1
		.amdhsa_memory_ordered 1
		.amdhsa_forward_progress 0
		.amdhsa_shared_vgpr_count 0
		.amdhsa_exception_fp_ieee_invalid_op 0
		.amdhsa_exception_fp_denorm_src 0
		.amdhsa_exception_fp_ieee_div_zero 0
		.amdhsa_exception_fp_ieee_overflow 0
		.amdhsa_exception_fp_ieee_underflow 0
		.amdhsa_exception_fp_ieee_inexact 0
		.amdhsa_exception_int_div_zero 0
	.end_amdhsa_kernel
	.text
.Lfunc_end0:
	.size	fft_rtc_back_len200_factors_10_10_2_wgs_60_tpt_20_halfLds_dp_ip_CI_unitstride_sbrr_C2R_dirReg, .Lfunc_end0-fft_rtc_back_len200_factors_10_10_2_wgs_60_tpt_20_halfLds_dp_ip_CI_unitstride_sbrr_C2R_dirReg
                                        ; -- End function
	.section	.AMDGPU.csdata,"",@progbits
; Kernel info:
; codeLenInByte = 7100
; NumSgprs: 24
; NumVgprs: 94
; ScratchSize: 0
; MemoryBound: 0
; FloatMode: 240
; IeeeMode: 1
; LDSByteSize: 0 bytes/workgroup (compile time only)
; SGPRBlocks: 2
; VGPRBlocks: 11
; NumSGPRsForWavesPerEU: 24
; NumVGPRsForWavesPerEU: 94
; Occupancy: 10
; WaveLimiterHint : 1
; COMPUTE_PGM_RSRC2:SCRATCH_EN: 0
; COMPUTE_PGM_RSRC2:USER_SGPR: 6
; COMPUTE_PGM_RSRC2:TRAP_HANDLER: 0
; COMPUTE_PGM_RSRC2:TGID_X_EN: 1
; COMPUTE_PGM_RSRC2:TGID_Y_EN: 0
; COMPUTE_PGM_RSRC2:TGID_Z_EN: 0
; COMPUTE_PGM_RSRC2:TIDIG_COMP_CNT: 0
	.text
	.p2alignl 6, 3214868480
	.fill 48, 4, 3214868480
	.type	__hip_cuid_daa19dd26966e384,@object ; @__hip_cuid_daa19dd26966e384
	.section	.bss,"aw",@nobits
	.globl	__hip_cuid_daa19dd26966e384
__hip_cuid_daa19dd26966e384:
	.byte	0                               ; 0x0
	.size	__hip_cuid_daa19dd26966e384, 1

	.ident	"AMD clang version 19.0.0git (https://github.com/RadeonOpenCompute/llvm-project roc-6.4.0 25133 c7fe45cf4b819c5991fe208aaa96edf142730f1d)"
	.section	".note.GNU-stack","",@progbits
	.addrsig
	.addrsig_sym __hip_cuid_daa19dd26966e384
	.amdgpu_metadata
---
amdhsa.kernels:
  - .args:
      - .actual_access:  read_only
        .address_space:  global
        .offset:         0
        .size:           8
        .value_kind:     global_buffer
      - .offset:         8
        .size:           8
        .value_kind:     by_value
      - .actual_access:  read_only
        .address_space:  global
        .offset:         16
        .size:           8
        .value_kind:     global_buffer
      - .actual_access:  read_only
        .address_space:  global
        .offset:         24
        .size:           8
        .value_kind:     global_buffer
      - .offset:         32
        .size:           8
        .value_kind:     by_value
      - .actual_access:  read_only
        .address_space:  global
        .offset:         40
        .size:           8
        .value_kind:     global_buffer
      - .actual_access:  read_only
        .address_space:  global
        .offset:         48
        .size:           8
        .value_kind:     global_buffer
      - .offset:         56
        .size:           4
        .value_kind:     by_value
      - .actual_access:  read_only
        .address_space:  global
        .offset:         64
        .size:           8
        .value_kind:     global_buffer
      - .actual_access:  read_only
        .address_space:  global
        .offset:         72
        .size:           8
        .value_kind:     global_buffer
      - .address_space:  global
        .offset:         80
        .size:           8
        .value_kind:     global_buffer
    .group_segment_fixed_size: 0
    .kernarg_segment_align: 8
    .kernarg_segment_size: 88
    .language:       OpenCL C
    .language_version:
      - 2
      - 0
    .max_flat_workgroup_size: 60
    .name:           fft_rtc_back_len200_factors_10_10_2_wgs_60_tpt_20_halfLds_dp_ip_CI_unitstride_sbrr_C2R_dirReg
    .private_segment_fixed_size: 0
    .sgpr_count:     24
    .sgpr_spill_count: 0
    .symbol:         fft_rtc_back_len200_factors_10_10_2_wgs_60_tpt_20_halfLds_dp_ip_CI_unitstride_sbrr_C2R_dirReg.kd
    .uniform_work_group_size: 1
    .uses_dynamic_stack: false
    .vgpr_count:     94
    .vgpr_spill_count: 0
    .wavefront_size: 32
    .workgroup_processor_mode: 1
amdhsa.target:   amdgcn-amd-amdhsa--gfx1030
amdhsa.version:
  - 1
  - 2
...

	.end_amdgpu_metadata
